;; amdgpu-corpus repo=zjin-lcf/HeCBench kind=compiled arch=gfx1100 opt=O3
	.text
	.amdgcn_target "amdgcn-amd-amdhsa--gfx1100"
	.amdhsa_code_object_version 6
	.protected	_Z17finite_differencePfPKfS1_iiii ; -- Begin function _Z17finite_differencePfPKfS1_iiii
	.globl	_Z17finite_differencePfPKfS1_iiii
	.p2align	8
	.type	_Z17finite_differencePfPKfS1_iiii,@function
_Z17finite_differencePfPKfS1_iiii:      ; @_Z17finite_differencePfPKfS1_iiii
; %bb.0:
	s_load_b128 s[4:7], s[0:1], 0x18
	s_waitcnt lgkmcnt(0)
	s_cmp_lt_i32 s6, 1
	s_cbranch_scc1 .LBB0_9
; %bb.1:
	s_load_b32 s2, s[0:1], 0x34
	v_bfe_u32 v1, v0, 10, 10
	v_and_b32_e32 v21, 0x3ff, v0
	s_add_i32 s20, s4, 8
	s_add_i32 s8, s5, 8
	s_load_b64 s[16:17], s[0:1], 0x10
	s_mul_i32 s12, s8, s20
	s_load_b128 s[8:11], s[0:1], 0x0
	s_ashr_i32 s13, s12, 31
	s_lshl_b32 s0, s5, 3
	s_lshl_b64 s[18:19], s[12:13], 2
	s_waitcnt lgkmcnt(0)
	s_lshr_b32 s3, s2, 16
	s_and_b32 s21, s2, 0xffff
	v_mad_u64_u32 v[2:3], null, s15, s3, v[1:2]
	s_mul_i32 s14, s14, s21
	s_lshl_b32 s2, s20, 2
	v_add_nc_u32_e32 v22, s14, v21
	s_add_i32 s2, s2, s7
	s_delay_alu instid0(SALU_CYCLE_1) | instskip(NEXT) | instid1(VALU_DEP_2)
	s_add_i32 s2, s2, 4
	v_mul_lo_u32 v0, v2, s20
	v_cmp_gt_i32_e64 s1, s5, v2
	s_delay_alu instid0(VALU_DEP_2)
	v_add3_u32 v3, s2, v22, v0
	s_add_i32 s2, s12, s12
	v_add3_u32 v0, v2, s0, 64
	s_lshl_b32 s0, s5, 2
	s_add_i32 s5, s15, 1
	v_add_nc_u32_e32 v5, s2, v3
	v_ashrrev_i32_e32 v4, 31, v3
	v_add3_u32 v2, v2, s0, 32
	s_mul_i32 s5, s5, s3
	s_delay_alu instid0(SALU_CYCLE_1)
	s_add_i32 s0, s0, s5
	v_add_nc_u32_e32 v7, s2, v5
	v_lshlrev_b64 v[3:4], 2, v[3:4]
	v_ashrrev_i32_e32 v6, 31, v5
	v_cmp_gt_i32_e64 s2, s4, v22
	s_lshl_b32 s5, s21, 2
	v_ashrrev_i32_e32 v8, 31, v7
	s_delay_alu instid0(VALU_DEP_3) | instskip(SKIP_1) | instid1(VALU_DEP_3)
	v_lshlrev_b64 v[5:6], 2, v[5:6]
	v_add_co_u32 v3, vcc_lo, s10, v3
	v_lshlrev_b64 v[7:8], 2, v[7:8]
	v_add_co_ci_u32_e32 v4, vcc_lo, s11, v4, vcc_lo
	s_and_b32 s2, s1, s2
	s_delay_alu instid0(VALU_DEP_2) | instskip(NEXT) | instid1(VALU_DEP_3)
	v_add_co_u32 v9, vcc_lo, s10, v7
	v_add_co_ci_u32_e32 v10, vcc_lo, s11, v8, vcc_lo
	v_add_co_u32 v5, vcc_lo, s10, v5
	v_add_co_ci_u32_e32 v6, vcc_lo, s11, v6, vcc_lo
	s_delay_alu instid0(VALU_DEP_4) | instskip(NEXT) | instid1(VALU_DEP_4)
	v_add_co_u32 v13, vcc_lo, v9, s18
	v_add_co_ci_u32_e32 v14, vcc_lo, s19, v10, vcc_lo
	v_add_co_u32 v7, vcc_lo, v3, s18
	v_add_co_ci_u32_e32 v8, vcc_lo, s19, v4, vcc_lo
	s_delay_alu instid0(VALU_DEP_4) | instskip(NEXT) | instid1(VALU_DEP_4)
	;; [unrolled: 5-line block ×3, first 2 shown]
	v_add_co_u32 v19, vcc_lo, v15, s18
	v_add_co_ci_u32_e32 v20, vcc_lo, s19, v16, vcc_lo
	s_clause 0x7
	global_load_b32 v6, v[5:6], off
	global_load_b32 v12, v[3:4], off
	;; [unrolled: 1-line block ×8, first 2 shown]
	v_add_nc_u32_e32 v3, s7, v21
	s_lshl_b32 s7, s4, 2
	v_lshlrev_b32_e32 v5, 2, v21
	s_add_i32 s13, s7, s14
	s_load_b32 s4, s[16:17], 0x0
	v_add3_u32 v18, s0, v1, 32
	v_cmp_gt_u32_e32 vcc_lo, 4, v1
	v_cmp_gt_u32_e64 s0, 4, v21
	s_waitcnt vmcnt(0)
	v_mad_u64_u32 v[13:14], null, v0, s20, v[3:4]
	v_mad_u32_u24 v0, 0xa0, v1, v5
	v_mul_lo_u32 v5, v2, s20
	v_mad_u64_u32 v[16:17], null, v18, s20, v[3:4]
	s_delay_alu instid0(VALU_DEP_3) | instskip(SKIP_3) | instid1(VALU_DEP_3)
	v_mad_u64_u32 v[1:2], null, 0xa0, s3, v[0:1]
	v_add3_u32 v13, s13, v13, 36
	v_add_nc_u32_e32 v17, 0x400, v0
	v_add3_u32 v5, v3, v5, s14
	v_ashrrev_i32_e32 v14, 31, v13
	s_delay_alu instid0(VALU_DEP_1) | instskip(SKIP_1) | instid1(VALU_DEP_2)
	v_lshlrev_b64 v[14:15], 2, v[13:14]
	v_lshl_add_u32 v13, s21, 2, v0
	v_add_co_u32 v2, s3, s10, v14
	s_delay_alu instid0(VALU_DEP_1)
	v_add_co_ci_u32_e64 v3, s3, s11, v15, s3
	v_add3_u32 v14, v5, s7, 36
	v_add3_u32 v15, s13, v16, 36
	v_add_nc_u32_e32 v16, 4, v5
	s_mov_b32 s3, 0
	s_branch .LBB0_3
.LBB0_2:                                ;   in Loop: Header=BB0_3 Depth=1
	s_or_b32 exec_lo, exec_lo, s7
	v_add_co_u32 v2, s1, v2, s18
	s_delay_alu instid0(VALU_DEP_1)
	v_add_co_ci_u32_e64 v3, s1, s19, v3, s1
	v_mov_b32_e32 v4, v8
	v_dual_mov_b32 v8, v9 :: v_dual_mov_b32 v9, v10
	v_mov_b32_e32 v10, v11
	v_dual_mov_b32 v11, v19 :: v_dual_mov_b32 v12, v18
	s_add_i32 s6, s6, -1
	s_add_i32 s3, s3, s12
	s_cmp_eq_u32 s6, 0
	s_cbranch_scc1 .LBB0_9
.LBB0_3:                                ; =>This Inner Loop Header: Depth=1
	global_load_b32 v19, v[2:3], off
	v_dual_mov_b32 v18, v7 :: v_dual_mov_b32 v7, v6
	v_mov_b32_e32 v6, v4
	s_waitcnt vmcnt(0) lgkmcnt(0)
	s_waitcnt_vscnt null, 0x0
	s_barrier
	buffer_gl0_inv
	s_and_saveexec_b32 s7, vcc_lo
	s_cbranch_execz .LBB0_5
; %bb.4:                                ;   in Loop: Header=BB0_3 Depth=1
	v_add_nc_u32_e32 v4, s3, v16
	v_add_nc_u32_e32 v20, s3, v15
	s_delay_alu instid0(VALU_DEP_2) | instskip(NEXT) | instid1(VALU_DEP_2)
	v_ashrrev_i32_e32 v5, 31, v4
	v_ashrrev_i32_e32 v21, 31, v20
	s_delay_alu instid0(VALU_DEP_2) | instskip(NEXT) | instid1(VALU_DEP_2)
	v_lshlrev_b64 v[4:5], 2, v[4:5]
	v_lshlrev_b64 v[20:21], 2, v[20:21]
	s_delay_alu instid0(VALU_DEP_2) | instskip(NEXT) | instid1(VALU_DEP_1)
	v_add_co_u32 v4, s1, s10, v4
	v_add_co_ci_u32_e64 v5, s1, s11, v5, s1
	s_delay_alu instid0(VALU_DEP_3) | instskip(NEXT) | instid1(VALU_DEP_1)
	v_add_co_u32 v20, s1, s10, v20
	v_add_co_ci_u32_e64 v21, s1, s11, v21, s1
	s_clause 0x1
	global_load_b32 v4, v[4:5], off
	global_load_b32 v5, v[20:21], off
	s_waitcnt vmcnt(1)
	ds_store_b32 v0, v4 offset:16
	s_waitcnt vmcnt(0)
	ds_store_b32 v1, v5 offset:656
.LBB0_5:                                ;   in Loop: Header=BB0_3 Depth=1
	s_or_b32 exec_lo, exec_lo, s7
	v_add_nc_u32_e32 v4, s3, v14
	s_and_saveexec_b32 s7, s0
	s_cbranch_execz .LBB0_7
; %bb.6:                                ;   in Loop: Header=BB0_3 Depth=1
	s_delay_alu instid0(VALU_DEP_1) | instskip(NEXT) | instid1(VALU_DEP_1)
	v_ashrrev_i32_e32 v5, 31, v4
	v_lshlrev_b64 v[20:21], 2, v[4:5]
	s_delay_alu instid0(VALU_DEP_1) | instskip(NEXT) | instid1(VALU_DEP_1)
	v_add_co_u32 v20, s1, s10, v20
	v_add_co_ci_u32_e64 v21, s1, s11, v21, s1
	s_delay_alu instid0(VALU_DEP_2) | instskip(NEXT) | instid1(VALU_DEP_1)
	v_add_co_u32 v22, s1, v20, s5
	v_add_co_ci_u32_e64 v23, s1, 0, v21, s1
	s_clause 0x1
	global_load_b32 v5, v[20:21], off offset:-16
	global_load_b32 v20, v[22:23], off
	s_waitcnt vmcnt(1)
	ds_store_b32 v0, v5 offset:640
	s_waitcnt vmcnt(0)
	ds_store_b32 v13, v20 offset:656
.LBB0_7:                                ;   in Loop: Header=BB0_3 Depth=1
	s_or_b32 exec_lo, exec_lo, s7
	ds_store_b32 v0, v8 offset:656
	s_waitcnt lgkmcnt(0)
	s_barrier
	buffer_gl0_inv
	s_and_saveexec_b32 s7, s2
	s_cbranch_execz .LBB0_2
; %bb.8:                                ;   in Loop: Header=BB0_3 Depth=1
	ds_load_2addr_b32 v[20:21], v0 offset0:84 offset1:124
	ds_load_2addr_b32 v[22:23], v0 offset0:204 offset1:244
	;; [unrolled: 1-line block ×4, first 2 shown]
	v_dual_add_f32 v5, v9, v6 :: v_dual_add_f32 v12, v19, v12
	ds_load_2addr_b32 v[28:29], v0 offset0:165 offset1:166
	ds_load_2addr_b32 v[30:31], v17 offset0:28 offset1:68
	s_load_b128 s[20:23], s[16:17], 0x4
	ds_load_2addr_b32 v[32:33], v0 offset0:167 offset1:168
	ds_load_2addr_b32 v[34:35], v0 offset0:160 offset1:161
	s_waitcnt lgkmcnt(0)
	v_add_f32_e32 v5, v5, v21
	v_dual_add_f32 v21, v10, v7 :: v_dual_add_f32 v12, v12, v26
	s_delay_alu instid0(VALU_DEP_1) | instskip(NEXT) | instid1(VALU_DEP_3)
	v_add_f32_e32 v20, v21, v20
	v_add_f32_e32 v5, v5, v22
	;; [unrolled: 1-line block ×3, first 2 shown]
	s_delay_alu instid0(VALU_DEP_1) | instskip(NEXT) | instid1(VALU_DEP_3)
	v_add_f32_e32 v21, v22, v27
	v_dual_add_f32 v20, v20, v23 :: v_dual_add_f32 v5, v5, v25
	s_delay_alu instid0(VALU_DEP_1) | instskip(NEXT) | instid1(VALU_DEP_1)
	v_add_f32_e32 v20, v20, v24
	v_dual_add_f32 v5, v5, v28 :: v_dual_add_f32 v20, v20, v29
	s_delay_alu instid0(VALU_DEP_1) | instskip(SKIP_1) | instid1(VALU_DEP_2)
	v_dual_add_f32 v21, v21, v30 :: v_dual_mul_f32 v22, s20, v5
	v_add_f32_e32 v5, v12, v31
	v_add_f32_e32 v12, v21, v35
	s_delay_alu instid0(VALU_DEP_2) | instskip(SKIP_1) | instid1(VALU_DEP_3)
	v_dual_fmac_f32 v22, s4, v8 :: v_dual_add_f32 v21, v5, v34
	v_ashrrev_i32_e32 v5, 31, v4
	v_add_f32_e32 v12, v12, v32
	s_delay_alu instid0(VALU_DEP_3) | instskip(NEXT) | instid1(VALU_DEP_4)
	v_fmac_f32_e32 v22, s21, v20
	v_add_f32_e32 v20, v21, v33
	s_delay_alu instid0(VALU_DEP_4) | instskip(NEXT) | instid1(VALU_DEP_3)
	v_lshlrev_b64 v[4:5], 2, v[4:5]
	v_fmac_f32_e32 v22, s22, v12
	s_delay_alu instid0(VALU_DEP_2) | instskip(NEXT) | instid1(VALU_DEP_2)
	v_add_co_u32 v4, s1, s8, v4
	v_fmac_f32_e32 v22, s23, v20
	s_delay_alu instid0(VALU_DEP_4)
	v_add_co_ci_u32_e64 v5, s1, s9, v5, s1
	global_store_b32 v[4:5], v22, off
	s_branch .LBB0_2
.LBB0_9:
	s_nop 0
	s_sendmsg sendmsg(MSG_DEALLOC_VGPRS)
	s_endpgm
	.section	.rodata,"a",@progbits
	.p2align	6, 0x0
	.amdhsa_kernel _Z17finite_differencePfPKfS1_iiii
		.amdhsa_group_segment_fixed_size 3840
		.amdhsa_private_segment_fixed_size 0
		.amdhsa_kernarg_size 296
		.amdhsa_user_sgpr_count 14
		.amdhsa_user_sgpr_dispatch_ptr 0
		.amdhsa_user_sgpr_queue_ptr 0
		.amdhsa_user_sgpr_kernarg_segment_ptr 1
		.amdhsa_user_sgpr_dispatch_id 0
		.amdhsa_user_sgpr_private_segment_size 0
		.amdhsa_wavefront_size32 1
		.amdhsa_uses_dynamic_stack 0
		.amdhsa_enable_private_segment 0
		.amdhsa_system_sgpr_workgroup_id_x 1
		.amdhsa_system_sgpr_workgroup_id_y 1
		.amdhsa_system_sgpr_workgroup_id_z 0
		.amdhsa_system_sgpr_workgroup_info 0
		.amdhsa_system_vgpr_workitem_id 1
		.amdhsa_next_free_vgpr 36
		.amdhsa_next_free_sgpr 24
		.amdhsa_reserve_vcc 1
		.amdhsa_float_round_mode_32 0
		.amdhsa_float_round_mode_16_64 0
		.amdhsa_float_denorm_mode_32 3
		.amdhsa_float_denorm_mode_16_64 3
		.amdhsa_dx10_clamp 1
		.amdhsa_ieee_mode 1
		.amdhsa_fp16_overflow 0
		.amdhsa_workgroup_processor_mode 1
		.amdhsa_memory_ordered 1
		.amdhsa_forward_progress 0
		.amdhsa_shared_vgpr_count 0
		.amdhsa_exception_fp_ieee_invalid_op 0
		.amdhsa_exception_fp_denorm_src 0
		.amdhsa_exception_fp_ieee_div_zero 0
		.amdhsa_exception_fp_ieee_overflow 0
		.amdhsa_exception_fp_ieee_underflow 0
		.amdhsa_exception_fp_ieee_inexact 0
		.amdhsa_exception_int_div_zero 0
	.end_amdhsa_kernel
	.text
.Lfunc_end0:
	.size	_Z17finite_differencePfPKfS1_iiii, .Lfunc_end0-_Z17finite_differencePfPKfS1_iiii
                                        ; -- End function
	.section	.AMDGPU.csdata,"",@progbits
; Kernel info:
; codeLenInByte = 1292
; NumSgprs: 26
; NumVgprs: 36
; ScratchSize: 0
; MemoryBound: 0
; FloatMode: 240
; IeeeMode: 1
; LDSByteSize: 3840 bytes/workgroup (compile time only)
; SGPRBlocks: 3
; VGPRBlocks: 4
; NumSGPRsForWavesPerEU: 26
; NumVGPRsForWavesPerEU: 36
; Occupancy: 16
; WaveLimiterHint : 0
; COMPUTE_PGM_RSRC2:SCRATCH_EN: 0
; COMPUTE_PGM_RSRC2:USER_SGPR: 14
; COMPUTE_PGM_RSRC2:TRAP_HANDLER: 0
; COMPUTE_PGM_RSRC2:TGID_X_EN: 1
; COMPUTE_PGM_RSRC2:TGID_Y_EN: 1
; COMPUTE_PGM_RSRC2:TGID_Z_EN: 0
; COMPUTE_PGM_RSRC2:TIDIG_COMP_CNT: 1
	.text
	.p2alignl 7, 3214868480
	.fill 96, 4, 3214868480
	.type	__hip_cuid_f6096a41aaaa0e34,@object ; @__hip_cuid_f6096a41aaaa0e34
	.section	.bss,"aw",@nobits
	.globl	__hip_cuid_f6096a41aaaa0e34
__hip_cuid_f6096a41aaaa0e34:
	.byte	0                               ; 0x0
	.size	__hip_cuid_f6096a41aaaa0e34, 1

	.ident	"AMD clang version 19.0.0git (https://github.com/RadeonOpenCompute/llvm-project roc-6.4.0 25133 c7fe45cf4b819c5991fe208aaa96edf142730f1d)"
	.section	".note.GNU-stack","",@progbits
	.addrsig
	.addrsig_sym __hip_cuid_f6096a41aaaa0e34
	.amdgpu_metadata
---
amdhsa.kernels:
  - .args:
      - .actual_access:  write_only
        .address_space:  global
        .offset:         0
        .size:           8
        .value_kind:     global_buffer
      - .actual_access:  read_only
        .address_space:  global
        .offset:         8
        .size:           8
        .value_kind:     global_buffer
      - .actual_access:  read_only
        .address_space:  global
        .offset:         16
        .size:           8
        .value_kind:     global_buffer
      - .offset:         24
        .size:           4
        .value_kind:     by_value
      - .offset:         28
        .size:           4
        .value_kind:     by_value
      - .offset:         32
        .size:           4
        .value_kind:     by_value
      - .offset:         36
        .size:           4
        .value_kind:     by_value
      - .offset:         40
        .size:           4
        .value_kind:     hidden_block_count_x
      - .offset:         44
        .size:           4
        .value_kind:     hidden_block_count_y
      - .offset:         48
        .size:           4
        .value_kind:     hidden_block_count_z
      - .offset:         52
        .size:           2
        .value_kind:     hidden_group_size_x
      - .offset:         54
        .size:           2
        .value_kind:     hidden_group_size_y
      - .offset:         56
        .size:           2
        .value_kind:     hidden_group_size_z
      - .offset:         58
        .size:           2
        .value_kind:     hidden_remainder_x
      - .offset:         60
        .size:           2
        .value_kind:     hidden_remainder_y
      - .offset:         62
        .size:           2
        .value_kind:     hidden_remainder_z
      - .offset:         80
        .size:           8
        .value_kind:     hidden_global_offset_x
      - .offset:         88
        .size:           8
        .value_kind:     hidden_global_offset_y
      - .offset:         96
        .size:           8
        .value_kind:     hidden_global_offset_z
      - .offset:         104
        .size:           2
        .value_kind:     hidden_grid_dims
    .group_segment_fixed_size: 3840
    .kernarg_segment_align: 8
    .kernarg_segment_size: 296
    .language:       OpenCL C
    .language_version:
      - 2
      - 0
    .max_flat_workgroup_size: 1024
    .name:           _Z17finite_differencePfPKfS1_iiii
    .private_segment_fixed_size: 0
    .sgpr_count:     26
    .sgpr_spill_count: 0
    .symbol:         _Z17finite_differencePfPKfS1_iiii.kd
    .uniform_work_group_size: 1
    .uses_dynamic_stack: false
    .vgpr_count:     36
    .vgpr_spill_count: 0
    .wavefront_size: 32
    .workgroup_processor_mode: 1
amdhsa.target:   amdgcn-amd-amdhsa--gfx1100
amdhsa.version:
  - 1
  - 2
...

	.end_amdgpu_metadata
